;; amdgpu-corpus repo=ROCm/rocFFT kind=compiled arch=gfx906 opt=O3
	.text
	.amdgcn_target "amdgcn-amd-amdhsa--gfx906"
	.amdhsa_code_object_version 6
	.protected	bluestein_single_fwd_len875_dim1_sp_op_CI_CI ; -- Begin function bluestein_single_fwd_len875_dim1_sp_op_CI_CI
	.globl	bluestein_single_fwd_len875_dim1_sp_op_CI_CI
	.p2align	8
	.type	bluestein_single_fwd_len875_dim1_sp_op_CI_CI,@function
bluestein_single_fwd_len875_dim1_sp_op_CI_CI: ; @bluestein_single_fwd_len875_dim1_sp_op_CI_CI
; %bb.0:
	s_load_dwordx4 s[0:3], s[4:5], 0x28
	v_mul_u32_u24_e32 v1, 0x177, v0
	v_add_u32_sdwa v36, s6, v1 dst_sel:DWORD dst_unused:UNUSED_PAD src0_sel:DWORD src1_sel:WORD_1
	v_mov_b32_e32 v37, 0
	s_waitcnt lgkmcnt(0)
	v_cmp_gt_u64_e32 vcc, s[0:1], v[36:37]
	s_and_saveexec_b64 s[0:1], vcc
	s_cbranch_execz .LBB0_15
; %bb.1:
	s_load_dwordx2 s[14:15], s[4:5], 0x0
	s_load_dwordx2 s[12:13], s[4:5], 0x38
	s_movk_i32 s0, 0xaf
	v_mul_lo_u16_sdwa v1, v1, s0 dst_sel:DWORD dst_unused:UNUSED_PAD src0_sel:WORD_1 src1_sel:DWORD
	v_sub_u16_e32 v40, v0, v1
	s_movk_i32 s0, 0x7d
	v_cmp_gt_u16_e64 s[0:1], s0, v40
	v_lshlrev_b32_e32 v39, 3, v40
	s_and_saveexec_b64 s[6:7], s[0:1]
	s_cbranch_execz .LBB0_3
; %bb.2:
	s_load_dwordx2 s[8:9], s[4:5], 0x18
	s_waitcnt lgkmcnt(0)
	v_mov_b32_e32 v14, s15
	s_load_dwordx4 s[8:11], s[8:9], 0x0
	s_waitcnt lgkmcnt(0)
	v_mad_u64_u32 v[0:1], s[16:17], s10, v36, 0
	v_mad_u64_u32 v[2:3], s[16:17], s8, v40, 0
	;; [unrolled: 1-line block ×4, first 2 shown]
	v_mov_b32_e32 v1, v4
	v_lshlrev_b64 v[0:1], 3, v[0:1]
	v_mov_b32_e32 v3, v5
	v_mov_b32_e32 v6, s3
	v_lshlrev_b64 v[2:3], 3, v[2:3]
	v_add_co_u32_e32 v0, vcc, s2, v0
	v_addc_co_u32_e32 v1, vcc, v6, v1, vcc
	v_add_co_u32_e32 v0, vcc, v0, v2
	v_addc_co_u32_e32 v1, vcc, v1, v3, vcc
	v_add_co_u32_e32 v15, vcc, s14, v39
	s_movk_i32 s2, 0x1000
	v_addc_co_u32_e32 v16, vcc, 0, v14, vcc
	v_add_co_u32_e32 v14, vcc, s2, v15
	s_mul_i32 s2, s9, 0x3e8
	s_mul_hi_u32 s3, s8, 0x3e8
	v_addc_co_u32_e32 v15, vcc, 0, v16, vcc
	s_mulk_i32 s8, 0x3e8
	s_add_i32 s2, s3, s2
	global_load_dwordx2 v[2:3], v[0:1], off
	v_mov_b32_e32 v16, s2
	v_add_co_u32_e32 v0, vcc, s8, v0
	v_addc_co_u32_e32 v1, vcc, v1, v16, vcc
	v_mov_b32_e32 v17, s2
	v_add_co_u32_e32 v16, vcc, s8, v0
	v_addc_co_u32_e32 v17, vcc, v1, v17, vcc
	global_load_dwordx2 v[4:5], v39, s[14:15]
	global_load_dwordx2 v[6:7], v39, s[14:15] offset:1000
	global_load_dwordx2 v[8:9], v39, s[14:15] offset:2000
	;; [unrolled: 1-line block ×4, first 2 shown]
	v_mov_b32_e32 v22, s2
	global_load_dwordx2 v[18:19], v[0:1], off
	global_load_dwordx2 v[20:21], v[16:17], off
	v_add_co_u32_e32 v0, vcc, s8, v16
	v_addc_co_u32_e32 v1, vcc, v17, v22, vcc
	v_mov_b32_e32 v23, s2
	global_load_dwordx2 v[16:17], v[0:1], off
	v_add_co_u32_e32 v0, vcc, s8, v0
	v_addc_co_u32_e32 v1, vcc, v1, v23, vcc
	v_mov_b32_e32 v24, s2
	global_load_dwordx2 v[22:23], v[0:1], off
	v_add_co_u32_e32 v0, vcc, s8, v0
	v_addc_co_u32_e32 v1, vcc, v1, v24, vcc
	global_load_dwordx2 v[24:25], v[0:1], off
	global_load_dwordx2 v[26:27], v[14:15], off offset:904
	v_mov_b32_e32 v28, s2
	v_add_co_u32_e32 v0, vcc, s8, v0
	v_addc_co_u32_e32 v1, vcc, v1, v28, vcc
	global_load_dwordx2 v[28:29], v[14:15], off offset:1904
	global_load_dwordx2 v[30:31], v[0:1], off
	v_add_u32_e32 v14, 0x400, v39
	v_add_u32_e32 v15, 0xc00, v39
	s_waitcnt vmcnt(12)
	v_mul_f32_e32 v1, v2, v5
	v_mul_f32_e32 v0, v3, v5
	v_fma_f32 v1, v3, v4, -v1
	v_fmac_f32_e32 v0, v2, v4
	s_waitcnt vmcnt(7)
	v_mul_f32_e32 v3, v18, v7
	v_mul_f32_e32 v2, v19, v7
	v_fma_f32 v3, v19, v6, -v3
	v_fmac_f32_e32 v2, v18, v6
	s_waitcnt vmcnt(6)
	v_mul_f32_e32 v4, v21, v9
	v_mul_f32_e32 v5, v20, v9
	ds_write2_b64 v39, v[0:1], v[2:3] offset1:125
	s_waitcnt vmcnt(5)
	v_mul_f32_e32 v0, v17, v11
	v_mul_f32_e32 v1, v16, v11
	v_fmac_f32_e32 v4, v20, v8
	v_fma_f32 v5, v21, v8, -v5
	v_fmac_f32_e32 v0, v16, v10
	v_fma_f32 v1, v17, v10, -v1
	s_waitcnt vmcnt(4)
	v_mul_f32_e32 v2, v23, v13
	v_mul_f32_e32 v3, v22, v13
	ds_write2_b64 v14, v[4:5], v[0:1] offset0:122 offset1:247
	v_fmac_f32_e32 v2, v22, v12
	v_fma_f32 v3, v23, v12, -v3
	s_waitcnt vmcnt(2)
	v_mul_f32_e32 v0, v25, v27
	v_mul_f32_e32 v1, v24, v27
	v_fmac_f32_e32 v0, v24, v26
	v_fma_f32 v1, v25, v26, -v1
	ds_write2_b64 v15, v[2:3], v[0:1] offset0:116 offset1:241
	s_waitcnt vmcnt(0)
	v_mul_f32_e32 v0, v31, v29
	v_mul_f32_e32 v1, v30, v29
	v_fmac_f32_e32 v0, v30, v28
	v_fma_f32 v1, v31, v28, -v1
	ds_write_b64 v39, v[0:1] offset:6000
.LBB0_3:
	s_or_b64 exec, exec, s[6:7]
	s_load_dwordx2 s[6:7], s[4:5], 0x20
	s_load_dwordx2 s[2:3], s[4:5], 0x8
	v_mov_b32_e32 v2, 0
	v_mov_b32_e32 v3, 0
	;; [unrolled: 1-line block ×8, first 2 shown]
	s_waitcnt lgkmcnt(0)
	s_barrier
	s_waitcnt lgkmcnt(0)
                                        ; implicit-def: $vgpr12
	s_and_saveexec_b64 s[4:5], s[0:1]
	s_cbranch_execz .LBB0_5
; %bb.4:
	v_add_u32_e32 v4, 0x400, v39
	v_add_u32_e32 v8, 0xc00, v39
	ds_read2_b64 v[0:3], v39 offset1:125
	ds_read2_b64 v[4:7], v4 offset0:122 offset1:247
	ds_read2_b64 v[8:11], v8 offset0:116 offset1:241
	ds_read_b64 v[12:13], v39 offset:6000
.LBB0_5:
	s_or_b64 exec, exec, s[4:5]
	s_waitcnt lgkmcnt(0)
	v_add_f32_e32 v15, v13, v3
	v_add_f32_e32 v17, v11, v5
	;; [unrolled: 1-line block ×4, first 2 shown]
	v_sub_f32_e32 v4, v4, v10
	v_sub_f32_e32 v5, v5, v11
	v_add_f32_e32 v10, v6, v8
	v_add_f32_e32 v11, v7, v9
	v_sub_f32_e32 v7, v9, v7
	v_add_f32_e32 v9, v15, v17
	v_sub_f32_e32 v12, v2, v12
	v_sub_f32_e32 v13, v3, v13
	;; [unrolled: 1-line block ×3, first 2 shown]
	v_add_f32_e32 v8, v14, v16
	v_sub_f32_e32 v2, v16, v14
	v_sub_f32_e32 v3, v17, v15
	;; [unrolled: 1-line block ×6, first 2 shown]
	v_add_f32_e32 v11, v9, v11
	v_add_f32_e32 v17, v4, v6
	;; [unrolled: 1-line block ×5, first 2 shown]
	v_sub_f32_e32 v20, v6, v4
	v_sub_f32_e32 v21, v7, v5
	;; [unrolled: 1-line block ×5, first 2 shown]
	v_add_f32_e32 v5, v12, v17
	v_add_f32_e32 v6, v13, v19
	;; [unrolled: 1-line block ×3, first 2 shown]
	v_mul_f32_e32 v13, 0x3d64c772, v16
	v_mov_b32_e32 v17, v1
	v_sub_f32_e32 v24, v4, v12
	v_mul_f32_e32 v19, 0x3f4a47b2, v18
	v_mul_f32_e32 v26, 0x3f4a47b2, v15
	;; [unrolled: 1-line block ×5, first 2 shown]
	v_mov_b32_e32 v8, v0
	v_fmac_f32_e32 v17, 0xbf955555, v11
	v_mov_b32_e32 v11, v13
	s_mov_b32 s4, 0xbf3bfb3b
	v_mul_f32_e32 v14, 0x3f5ff5aa, v24
	v_mul_f32_e32 v12, 0x3f5ff5aa, v25
	v_fmac_f32_e32 v8, 0xbf955555, v10
	v_mov_b32_e32 v10, v4
	v_fmac_f32_e32 v11, 0x3f4a47b2, v15
	v_fma_f32 v24, v2, s4, -v19
	v_fma_f32 v25, v3, s4, -v26
	v_mov_b32_e32 v15, v9
	v_mov_b32_e32 v16, v7
	s_mov_b32 s4, 0xbeae86e6
	v_fmac_f32_e32 v10, 0x3f4a47b2, v18
	v_fmac_f32_e32 v15, 0x3eae86e6, v22
	v_fmac_f32_e32 v16, 0x3eae86e6, v23
	v_fma_f32 v19, v22, s4, -v14
	v_fma_f32 v20, v23, s4, -v12
	v_add_f32_e32 v18, v10, v8
	v_add_f32_e32 v21, v11, v17
	;; [unrolled: 1-line block ×4, first 2 shown]
	v_fmac_f32_e32 v15, 0x3ee1c552, v5
	v_fmac_f32_e32 v16, 0x3ee1c552, v6
	;; [unrolled: 1-line block ×4, first 2 shown]
	v_sub_f32_e32 v10, v22, v20
	v_add_f32_e32 v11, v19, v23
	v_sub_f32_e32 v37, v18, v16
	v_add_f32_e32 v38, v15, v21
	v_mul_lo_u16_e32 v41, 7, v40
	s_barrier
	s_and_saveexec_b64 s[4:5], s[0:1]
	s_cbranch_execz .LBB0_7
; %bb.6:
	v_mul_f32_e32 v3, 0x3f3bfb3b, v3
	v_mul_f32_e32 v2, 0x3f3bfb3b, v2
	v_sub_f32_e32 v3, v3, v13
	v_mul_f32_e32 v5, 0x3ee1c552, v5
	v_mul_f32_e32 v6, 0x3ee1c552, v6
	v_add_f32_e32 v13, v3, v17
	v_sub_f32_e32 v3, v14, v9
	v_sub_f32_e32 v7, v12, v7
	;; [unrolled: 1-line block ×3, first 2 shown]
	v_add_f32_e32 v5, v3, v5
	v_add_f32_e32 v6, v7, v6
	;; [unrolled: 1-line block ×3, first 2 shown]
	v_sub_f32_e32 v9, v21, v15
	v_add_f32_e32 v8, v18, v16
	v_lshlrev_b32_e32 v12, 3, v41
	v_sub_f32_e32 v3, v13, v5
	v_add_f32_e32 v2, v4, v6
	v_add_f32_e32 v5, v5, v13
	v_sub_f32_e32 v4, v4, v6
	v_sub_f32_e32 v7, v23, v19
	v_add_f32_e32 v6, v22, v20
	ds_write2_b64 v12, v[0:1], v[8:9] offset1:1
	ds_write2_b64 v12, v[6:7], v[4:5] offset0:2 offset1:3
	ds_write2_b64 v12, v[2:3], v[10:11] offset0:4 offset1:5
	ds_write_b64 v12, v[37:38] offset:48
.LBB0_7:
	s_or_b64 exec, exec, s[4:5]
	v_mov_b32_e32 v0, 37
	v_mul_lo_u16_sdwa v0, v40, v0 dst_sel:DWORD dst_unused:UNUSED_PAD src0_sel:BYTE_0 src1_sel:DWORD
	v_sub_u16_sdwa v1, v40, v0 dst_sel:DWORD dst_unused:UNUSED_PAD src0_sel:DWORD src1_sel:BYTE_1
	v_lshrrev_b16_e32 v1, 1, v1
	v_and_b32_e32 v1, 0x7f, v1
	v_add_u16_sdwa v0, v1, v0 dst_sel:DWORD dst_unused:UNUSED_PAD src0_sel:DWORD src1_sel:BYTE_1
	v_lshrrev_b16_e32 v20, 2, v0
	v_mul_lo_u16_e32 v0, 7, v20
	v_sub_u16_e32 v0, v40, v0
	v_and_b32_e32 v21, 0xff, v0
	v_lshlrev_b32_e32 v8, 5, v21
	s_load_dwordx4 s[4:7], s[6:7], 0x0
	s_waitcnt lgkmcnt(0)
	s_barrier
	global_load_dwordx4 v[4:7], v8, s[2:3]
	global_load_dwordx4 v[0:3], v8, s[2:3] offset:16
	v_add_u32_e32 v44, 0xa00, v39
	ds_read2_b64 v[12:15], v39 offset1:175
	ds_read2_b64 v[16:19], v44 offset0:30 offset1:205
	ds_read_b64 v[8:9], v39 offset:5600
	v_mul_u32_u24_e32 v20, 35, v20
	s_movk_i32 s8, 0xeb
	s_waitcnt vmcnt(0) lgkmcnt(0)
	s_barrier
	v_mul_f32_e32 v22, v15, v5
	v_mul_f32_e32 v23, v17, v7
	;; [unrolled: 1-line block ×8, first 2 shown]
	v_fma_f32 v16, v16, v6, -v23
	v_fmac_f32_e32 v24, v17, v6
	v_fma_f32 v17, v18, v0, -v25
	v_fmac_f32_e32 v26, v19, v0
	v_fma_f32 v14, v14, v4, -v22
	v_fma_f32 v18, v8, v2, -v28
	v_fmac_f32_e32 v27, v15, v4
	v_fmac_f32_e32 v29, v9, v2
	v_add_f32_e32 v8, v16, v17
	v_add_f32_e32 v9, v24, v26
	;; [unrolled: 1-line block ×6, first 2 shown]
	v_sub_f32_e32 v25, v14, v16
	v_sub_f32_e32 v28, v16, v14
	;; [unrolled: 1-line block ×5, first 2 shown]
	v_fma_f32 v8, -0.5, v8, v12
	v_fma_f32 v9, -0.5, v9, v13
	;; [unrolled: 1-line block ×3, first 2 shown]
	v_add_f32_e32 v15, v22, v16
	v_sub_f32_e32 v30, v16, v17
	v_sub_f32_e32 v34, v27, v29
	;; [unrolled: 1-line block ×4, first 2 shown]
	v_fma_f32 v13, -0.5, v19, v13
	v_add_f32_e32 v16, v23, v24
	v_add_f32_e32 v24, v14, v42
	;; [unrolled: 1-line block ×3, first 2 shown]
	v_mov_b32_e32 v14, v8
	v_mov_b32_e32 v15, v9
	v_sub_f32_e32 v31, v18, v17
	v_sub_f32_e32 v32, v17, v18
	;; [unrolled: 1-line block ×3, first 2 shown]
	v_add_f32_e32 v26, v16, v26
	v_fmac_f32_e32 v8, 0xbf737871, v34
	v_mov_b32_e32 v16, v12
	v_mov_b32_e32 v17, v13
	v_fmac_f32_e32 v14, 0x3f737871, v34
	v_fmac_f32_e32 v15, 0xbf737871, v33
	v_add_f32_e32 v22, v25, v31
	v_fmac_f32_e32 v12, 0x3f737871, v35
	v_fmac_f32_e32 v9, 0x3f737871, v33
	v_fmac_f32_e32 v13, 0xbf737871, v30
	v_fmac_f32_e32 v8, 0xbf167918, v35
	v_fmac_f32_e32 v16, 0xbf737871, v35
	v_fmac_f32_e32 v17, 0x3f737871, v30
	v_fmac_f32_e32 v14, 0x3f167918, v35
	v_fmac_f32_e32 v15, 0xbf167918, v30
	v_add_f32_e32 v23, v28, v32
	v_add_f32_e32 v25, v27, v43
	v_add_f32_e32 v18, v19, v18
	v_add_f32_e32 v19, v26, v29
	v_fmac_f32_e32 v12, 0xbf167918, v34
	v_fmac_f32_e32 v9, 0x3f167918, v30
	;; [unrolled: 1-line block ×8, first 2 shown]
	v_add_lshl_u32 v42, v20, v21, 3
	v_fmac_f32_e32 v12, 0x3e9e377a, v23
	v_fmac_f32_e32 v9, 0x3e9e377a, v24
	;; [unrolled: 1-line block ×5, first 2 shown]
	ds_write2_b64 v42, v[18:19], v[14:15] offset1:7
	ds_write2_b64 v42, v[16:17], v[12:13] offset0:14 offset1:21
	ds_write_b64 v42, v[8:9] offset:224
	v_mul_lo_u16_sdwa v8, v40, s8 dst_sel:DWORD dst_unused:UNUSED_PAD src0_sel:BYTE_0 src1_sel:DWORD
	v_lshrrev_b16_e32 v8, 13, v8
	v_mul_lo_u16_e32 v9, 35, v8
	v_sub_u16_e32 v9, v40, v9
	v_and_b32_e32 v9, 0xff, v9
	v_lshlrev_b32_e32 v20, 5, v9
	s_waitcnt lgkmcnt(0)
	s_barrier
	global_load_dwordx4 v[16:19], v20, s[2:3] offset:224
	global_load_dwordx4 v[12:15], v20, s[2:3] offset:240
	v_mul_u32_u24_e32 v8, 0xaf, v8
	v_add_lshl_u32 v43, v8, v9, 3
	ds_read2_b64 v[20:23], v44 offset0:30 offset1:205
	ds_read_b64 v[8:9], v39 offset:5600
	ds_read2_b64 v[24:27], v39 offset1:175
	s_waitcnt vmcnt(0) lgkmcnt(0)
	s_barrier
	v_mul_f32_e32 v28, v21, v19
	v_mul_f32_e32 v29, v20, v19
	;; [unrolled: 1-line block ×8, first 2 shown]
	v_fma_f32 v28, v20, v18, -v28
	v_fmac_f32_e32 v29, v21, v18
	v_fma_f32 v22, v22, v12, -v30
	v_fmac_f32_e32 v31, v23, v12
	;; [unrolled: 2-line block ×4, first 2 shown]
	v_add_f32_e32 v9, v28, v22
	v_add_f32_e32 v20, v29, v31
	;; [unrolled: 1-line block ×5, first 2 shown]
	v_sub_f32_e32 v32, v8, v28
	v_sub_f32_e32 v48, v8, v30
	;; [unrolled: 1-line block ×3, first 2 shown]
	v_fma_f32 v8, -0.5, v9, v24
	v_fma_f32 v9, -0.5, v20, v25
	;; [unrolled: 1-line block ×4, first 2 shown]
	v_add_f32_e32 v23, v26, v28
	v_add_f32_e32 v27, v25, v35
	v_sub_f32_e32 v34, v30, v22
	v_sub_f32_e32 v47, v35, v33
	;; [unrolled: 1-line block ×4, first 2 shown]
	v_add_f32_e32 v25, v23, v22
	v_mov_b32_e32 v22, v8
	v_mov_b32_e32 v23, v9
	v_sub_f32_e32 v45, v35, v29
	v_sub_f32_e32 v46, v33, v31
	;; [unrolled: 1-line block ×3, first 2 shown]
	v_add_f32_e32 v24, v27, v29
	v_fmac_f32_e32 v22, 0x3f737871, v47
	v_fmac_f32_e32 v23, 0xbf737871, v48
	v_add_f32_e32 v32, v32, v34
	v_add_f32_e32 v34, v45, v46
	;; [unrolled: 1-line block ×3, first 2 shown]
	v_fmac_f32_e32 v22, 0x3f167918, v49
	v_fmac_f32_e32 v23, 0xbf167918, v50
	v_add_f32_e32 v25, v25, v30
	v_add_f32_e32 v26, v26, v33
	v_fmac_f32_e32 v22, 0x3e9e377a, v32
	v_fmac_f32_e32 v23, 0x3e9e377a, v34
	v_mov_b32_e32 v24, v20
	ds_write2_b64 v43, v[25:26], v[22:23] offset1:35
	v_mov_b32_e32 v25, v21
	v_fmac_f32_e32 v8, 0xbf737871, v47
	v_fmac_f32_e32 v20, 0x3f737871, v49
	;; [unrolled: 1-line block ×3, first 2 shown]
	v_sub_f32_e32 v22, v29, v35
	v_sub_f32_e32 v23, v31, v33
	v_fmac_f32_e32 v25, 0x3f737871, v50
	v_fmac_f32_e32 v21, 0xbf737871, v50
	v_add_f32_e32 v27, v51, v52
	v_fmac_f32_e32 v8, 0xbf167918, v49
	v_fmac_f32_e32 v20, 0xbf167918, v47
	;; [unrolled: 1-line block ×4, first 2 shown]
	v_add_f32_e32 v22, v22, v23
	v_fmac_f32_e32 v25, 0xbf167918, v48
	v_fmac_f32_e32 v21, 0x3f167918, v48
	v_fmac_f32_e32 v8, 0x3e9e377a, v32
	v_fmac_f32_e32 v24, 0x3e9e377a, v27
	v_fmac_f32_e32 v20, 0x3e9e377a, v27
	v_fmac_f32_e32 v9, 0x3f167918, v50
	v_fmac_f32_e32 v25, 0x3e9e377a, v22
	v_fmac_f32_e32 v21, 0x3e9e377a, v22
	v_fmac_f32_e32 v9, 0x3e9e377a, v34
	ds_write2_b64 v43, v[24:25], v[20:21] offset0:70 offset1:105
	ds_write_b64 v43, v[8:9] offset:1120
	v_lshlrev_b32_e32 v8, 5, v40
	s_waitcnt lgkmcnt(0)
	s_barrier
	global_load_dwordx4 v[20:23], v8, s[2:3] offset:1344
	global_load_dwordx4 v[24:27], v8, s[2:3] offset:1360
	ds_read2_b64 v[28:31], v44 offset0:30 offset1:205
	ds_read_b64 v[8:9], v39 offset:5600
	ds_read2_b64 v[32:35], v39 offset1:175
	s_waitcnt vmcnt(1) lgkmcnt(2)
	v_mul_f32_e32 v45, v29, v23
	s_waitcnt vmcnt(0) lgkmcnt(1)
	v_mul_f32_e32 v49, v9, v27
	s_waitcnt lgkmcnt(0)
	v_mul_f32_e32 v51, v35, v21
	v_mul_f32_e32 v46, v28, v23
	v_mul_f32_e32 v47, v31, v25
	v_mul_f32_e32 v48, v30, v25
	v_mul_f32_e32 v50, v8, v27
	v_mul_f32_e32 v52, v34, v21
	v_fma_f32 v28, v28, v22, -v45
	v_fma_f32 v45, v8, v26, -v49
	v_fma_f32 v8, v34, v20, -v51
	v_fmac_f32_e32 v46, v29, v22
	v_fma_f32 v29, v30, v24, -v47
	v_fmac_f32_e32 v48, v31, v24
	v_fmac_f32_e32 v52, v35, v20
	v_add_f32_e32 v35, v32, v8
	v_fmac_f32_e32 v50, v9, v26
	v_add_f32_e32 v9, v28, v29
	v_add_f32_e32 v30, v46, v48
	;; [unrolled: 1-line block ×4, first 2 shown]
	v_sub_f32_e32 v49, v8, v28
	v_sub_f32_e32 v53, v28, v8
	;; [unrolled: 1-line block ×3, first 2 shown]
	v_add_f32_e32 v28, v35, v28
	v_add_f32_e32 v34, v52, v50
	v_sub_f32_e32 v51, v45, v29
	v_sub_f32_e32 v54, v29, v45
	;; [unrolled: 1-line block ×3, first 2 shown]
	v_fma_f32 v8, -0.5, v9, v32
	v_fma_f32 v9, -0.5, v30, v33
	;; [unrolled: 1-line block ×3, first 2 shown]
	v_add_f32_e32 v32, v47, v46
	v_add_f32_e32 v29, v28, v29
	v_fma_f32 v31, -0.5, v34, v33
	v_add_f32_e32 v33, v32, v48
	v_add_f32_e32 v32, v29, v45
	v_sub_f32_e32 v29, v46, v52
	v_sub_f32_e32 v45, v48, v50
	;; [unrolled: 1-line block ×4, first 2 shown]
	v_mov_b32_e32 v34, v8
	v_mov_b32_e32 v28, v30
	;; [unrolled: 1-line block ×3, first 2 shown]
	v_add_f32_e32 v45, v29, v45
	v_mov_b32_e32 v29, v31
	v_sub_f32_e32 v55, v52, v46
	v_sub_f32_e32 v56, v50, v48
	v_fmac_f32_e32 v8, 0xbf737871, v59
	v_fmac_f32_e32 v30, 0x3f737871, v60
	;; [unrolled: 1-line block ×8, first 2 shown]
	v_add_f32_e32 v49, v49, v51
	v_add_f32_e32 v51, v53, v54
	;; [unrolled: 1-line block ×3, first 2 shown]
	v_fmac_f32_e32 v8, 0xbf167918, v60
	v_fmac_f32_e32 v30, 0xbf167918, v59
	;; [unrolled: 1-line block ×8, first 2 shown]
	v_add_f32_e32 v33, v33, v50
	v_fmac_f32_e32 v8, 0x3e9e377a, v49
	v_fmac_f32_e32 v30, 0x3e9e377a, v51
	;; [unrolled: 1-line block ×8, first 2 shown]
	ds_write2_b64 v44, v[28:29], v[30:31] offset0:30 offset1:205
	ds_write2_b64 v39, v[32:33], v[34:35] offset1:175
	ds_write_b64 v39, v[8:9] offset:5600
	s_waitcnt lgkmcnt(0)
	s_barrier
	s_and_saveexec_b64 s[2:3], s[0:1]
	s_cbranch_execz .LBB0_9
; %bb.8:
	v_add_co_u32_e32 v54, vcc, s14, v39
	v_mov_b32_e32 v44, s15
	v_addc_co_u32_e32 v55, vcc, 0, v44, vcc
	v_add_co_u32_e32 v48, vcc, 0x1b58, v54
	v_addc_co_u32_e32 v49, vcc, 0, v55, vcc
	v_add_co_u32_e32 v46, vcc, 0x1000, v54
	v_addc_co_u32_e32 v47, vcc, 0, v55, vcc
	global_load_dwordx2 v[46:47], v[46:47], off offset:2904
	ds_read_b64 v[44:45], v39
	v_add_u32_e32 v56, 0x800, v39
	s_movk_i32 s8, 0x2000
	s_waitcnt vmcnt(0) lgkmcnt(0)
	v_mul_f32_e32 v50, v45, v47
	v_mul_f32_e32 v51, v44, v47
	v_fma_f32 v50, v44, v46, -v50
	v_fmac_f32_e32 v51, v45, v46
	ds_write_b64 v39, v[50:51]
	global_load_dwordx2 v[50:51], v[48:49], off offset:1000
	ds_read2_b64 v[44:47], v39 offset0:125 offset1:250
	s_waitcnt vmcnt(0) lgkmcnt(0)
	v_mul_f32_e32 v52, v45, v51
	v_mul_f32_e32 v53, v44, v51
	v_fma_f32 v52, v44, v50, -v52
	v_fmac_f32_e32 v53, v45, v50
	global_load_dwordx2 v[44:45], v[48:49], off offset:2000
	s_waitcnt vmcnt(0)
	v_mul_f32_e32 v50, v47, v45
	v_mul_f32_e32 v51, v46, v45
	v_fma_f32 v50, v46, v44, -v50
	v_fmac_f32_e32 v51, v47, v44
	ds_write2_b64 v39, v[52:53], v[50:51] offset0:125 offset1:250
	global_load_dwordx2 v[50:51], v[48:49], off offset:3000
	ds_read2_b64 v[44:47], v56 offset0:119 offset1:244
	s_waitcnt vmcnt(0) lgkmcnt(0)
	v_mul_f32_e32 v52, v45, v51
	v_mul_f32_e32 v53, v44, v51
	v_fma_f32 v52, v44, v50, -v52
	v_fmac_f32_e32 v53, v45, v50
	global_load_dwordx2 v[44:45], v[48:49], off offset:4000
	s_waitcnt vmcnt(0)
	v_mul_f32_e32 v48, v47, v45
	v_mul_f32_e32 v49, v46, v45
	v_fma_f32 v48, v46, v44, -v48
	v_fmac_f32_e32 v49, v47, v44
	ds_write2_b64 v56, v[52:53], v[48:49] offset0:119 offset1:244
	v_add_co_u32_e32 v48, vcc, s8, v54
	v_addc_co_u32_e32 v49, vcc, 0, v55, vcc
	global_load_dwordx2 v[48:49], v[48:49], off offset:3808
	v_add_u32_e32 v52, 0x1000, v39
	ds_read2_b64 v[44:47], v52 offset0:113 offset1:238
	s_waitcnt vmcnt(0) lgkmcnt(0)
	v_mul_f32_e32 v50, v45, v49
	v_fma_f32 v50, v44, v48, -v50
	v_mul_f32_e32 v51, v44, v49
	v_add_co_u32_e32 v44, vcc, 0x3000, v54
	v_fmac_f32_e32 v51, v45, v48
	v_addc_co_u32_e32 v45, vcc, 0, v55, vcc
	global_load_dwordx2 v[44:45], v[44:45], off offset:712
	s_waitcnt vmcnt(0)
	v_mul_f32_e32 v48, v47, v45
	v_mul_f32_e32 v49, v46, v45
	v_fma_f32 v48, v46, v44, -v48
	v_fmac_f32_e32 v49, v47, v44
	ds_write2_b64 v52, v[50:51], v[48:49] offset0:113 offset1:238
.LBB0_9:
	s_or_b64 exec, exec, s[2:3]
	s_waitcnt lgkmcnt(0)
	s_barrier
	s_and_saveexec_b64 s[2:3], s[0:1]
	s_cbranch_execz .LBB0_11
; %bb.10:
	v_add_u32_e32 v8, 0x400, v39
	ds_read2_b64 v[28:31], v8 offset0:122 offset1:247
	v_add_u32_e32 v8, 0xc00, v39
	ds_read2_b64 v[32:35], v39 offset1:125
	ds_read2_b64 v[8:11], v8 offset0:116 offset1:241
	ds_read_b64 v[37:38], v39 offset:6000
.LBB0_11:
	s_or_b64 exec, exec, s[2:3]
	s_waitcnt lgkmcnt(0)
	s_barrier
	s_and_saveexec_b64 s[2:3], s[0:1]
	s_cbranch_execz .LBB0_13
; %bb.12:
	v_sub_f32_e32 v46, v34, v37
	v_sub_f32_e32 v44, v8, v30
	;; [unrolled: 1-line block ×5, first 2 shown]
	v_add_f32_e32 v44, v44, v48
	v_add_f32_e32 v51, v44, v46
	;; [unrolled: 1-line block ×4, first 2 shown]
	v_mul_f32_e32 v49, 0x3f08b237, v45
	v_sub_f32_e32 v45, v52, v44
	v_mul_f32_e32 v53, 0x3f4a47b2, v45
	v_add_f32_e32 v54, v11, v29
	v_sub_f32_e32 v45, v44, v54
	v_mov_b32_e32 v56, v53
	v_mul_f32_e32 v55, 0x3d64c772, v45
	v_fmac_f32_e32 v56, 0x3d64c772, v45
	v_add_f32_e32 v45, v54, v52
	v_add_f32_e32 v44, v44, v45
	;; [unrolled: 1-line block ×5, first 2 shown]
	v_sub_f32_e32 v30, v34, v8
	v_mov_b32_e32 v57, v33
	v_mul_f32_e32 v30, 0x3f4a47b2, v30
	v_add_f32_e32 v10, v10, v28
	v_fmac_f32_e32 v57, 0xbf955555, v44
	v_sub_f32_e32 v28, v8, v10
	v_mov_b32_e32 v44, v30
	v_mul_f32_e32 v37, 0x3d64c772, v28
	v_fmac_f32_e32 v44, 0x3d64c772, v28
	v_add_f32_e32 v28, v10, v34
	v_add_f32_e32 v8, v8, v28
	;; [unrolled: 1-line block ×3, first 2 shown]
	v_mov_b32_e32 v28, v32
	v_fmac_f32_e32 v28, 0xbf955555, v8
	v_sub_f32_e32 v8, v35, v38
	v_sub_f32_e32 v9, v9, v31
	;; [unrolled: 1-line block ×5, first 2 shown]
	v_add_f32_e32 v9, v9, v11
	v_sub_f32_e32 v46, v48, v46
	v_sub_f32_e32 v10, v10, v34
	;; [unrolled: 1-line block ×3, first 2 shown]
	v_mov_b32_e32 v50, v49
	v_mul_f32_e32 v29, 0x3f08b237, v29
	v_add_f32_e32 v35, v9, v8
	v_mul_f32_e32 v9, 0xbf5ff5aa, v46
	s_mov_b32 s9, 0x3eae86e6
	v_sub_f32_e32 v48, v54, v52
	s_mov_b32 s10, 0xbf3bfb3b
	v_mul_f32_e32 v8, 0xbf5ff5aa, v34
	v_fmac_f32_e32 v50, 0xbeae86e6, v47
	v_mov_b32_e32 v38, v29
	s_mov_b32 s8, 0xbf5ff5aa
	v_fma_f32 v47, v47, s9, -v9
	v_fma_f32 v9, v48, s10, -v53
	;; [unrolled: 1-line block ×3, first 2 shown]
	s_mov_b32 s9, 0x3f3bfb3b
	v_fmac_f32_e32 v38, 0xbeae86e6, v31
	v_fma_f32 v30, v10, s10, -v30
	v_fma_f32 v34, v34, s8, -v29
	;; [unrolled: 1-line block ×3, first 2 shown]
	v_fmac_f32_e32 v50, 0xbee1c552, v51
	v_add_f32_e32 v56, v56, v57
	v_add_f32_e32 v58, v44, v28
	v_fmac_f32_e32 v38, 0xbee1c552, v35
	v_add_f32_e32 v30, v30, v28
	v_fma_f32 v11, v48, s9, -v55
	v_fma_f32 v46, v46, s8, -v49
	v_fmac_f32_e32 v34, 0xbee1c552, v35
	v_add_f32_e32 v28, v10, v28
	v_fmac_f32_e32 v47, 0xbee1c552, v51
	v_add_f32_e32 v52, v9, v57
	;; [unrolled: 2-line block ×4, first 2 shown]
	v_sub_f32_e32 v28, v28, v34
	v_sub_f32_e32 v35, v56, v50
	v_add_f32_e32 v34, v58, v38
	v_lshlrev_b32_e32 v37, 3, v41
	v_add_f32_e32 v45, v50, v56
	v_sub_f32_e32 v44, v58, v38
	v_add_f32_e32 v9, v47, v52
	v_sub_f32_e32 v8, v30, v53
	v_sub_f32_e32 v11, v31, v46
	v_add_f32_e32 v29, v46, v31
	v_sub_f32_e32 v31, v52, v47
	v_add_f32_e32 v30, v53, v30
	ds_write2_b64 v37, v[32:33], v[34:35] offset1:1
	ds_write2_b64 v37, v[30:31], v[28:29] offset0:2 offset1:3
	ds_write2_b64 v37, v[10:11], v[8:9] offset0:4 offset1:5
	ds_write_b64 v37, v[44:45] offset:48
.LBB0_13:
	s_or_b64 exec, exec, s[2:3]
	s_waitcnt lgkmcnt(0)
	s_barrier
	ds_read2_b64 v[8:11], v39 offset1:175
	v_add_u32_e32 v34, 0xa00, v39
	ds_read2_b64 v[28:31], v34 offset0:30 offset1:205
	ds_read_b64 v[32:33], v39 offset:5600
	s_waitcnt lgkmcnt(0)
	s_barrier
	v_mul_f32_e32 v35, v5, v11
	v_mul_f32_e32 v5, v5, v10
	v_fmac_f32_e32 v35, v4, v10
	v_fma_f32 v10, v4, v11, -v5
	v_mul_f32_e32 v11, v7, v29
	v_mul_f32_e32 v4, v7, v28
	;; [unrolled: 1-line block ×3, first 2 shown]
	v_fmac_f32_e32 v11, v6, v28
	v_fmac_f32_e32 v7, v0, v30
	v_mul_f32_e32 v1, v1, v30
	v_fma_f32 v28, v6, v29, -v4
	v_fma_f32 v29, v0, v31, -v1
	v_mul_f32_e32 v5, v3, v33
	v_mul_f32_e32 v0, v3, v32
	v_add_f32_e32 v1, v11, v7
	v_fmac_f32_e32 v5, v2, v32
	v_fma_f32 v30, v2, v33, -v0
	v_fma_f32 v2, -0.5, v1, v8
	v_sub_f32_e32 v1, v10, v30
	v_mov_b32_e32 v4, v2
	v_fmac_f32_e32 v4, 0xbf737871, v1
	v_sub_f32_e32 v3, v28, v29
	v_sub_f32_e32 v6, v35, v11
	;; [unrolled: 1-line block ×3, first 2 shown]
	v_fmac_f32_e32 v2, 0x3f737871, v1
	v_fmac_f32_e32 v4, 0xbf167918, v3
	v_add_f32_e32 v6, v6, v31
	v_fmac_f32_e32 v2, 0x3f167918, v3
	v_fmac_f32_e32 v4, 0x3e9e377a, v6
	;; [unrolled: 1-line block ×3, first 2 shown]
	v_add_f32_e32 v6, v35, v5
	v_fma_f32 v6, -0.5, v6, v8
	v_add_f32_e32 v0, v8, v35
	v_mov_b32_e32 v8, v6
	v_add_f32_e32 v0, v0, v11
	v_fmac_f32_e32 v8, 0x3f737871, v3
	v_sub_f32_e32 v31, v11, v35
	v_sub_f32_e32 v32, v7, v5
	v_fmac_f32_e32 v6, 0xbf737871, v3
	v_add_f32_e32 v3, v28, v29
	v_add_f32_e32 v0, v0, v7
	v_fmac_f32_e32 v8, 0xbf167918, v1
	v_add_f32_e32 v31, v31, v32
	v_fmac_f32_e32 v6, 0x3f167918, v1
	v_fma_f32 v3, -0.5, v3, v9
	v_add_f32_e32 v0, v0, v5
	v_fmac_f32_e32 v8, 0x3e9e377a, v31
	v_fmac_f32_e32 v6, 0x3e9e377a, v31
	v_sub_f32_e32 v31, v35, v5
	v_mov_b32_e32 v5, v3
	v_fmac_f32_e32 v5, 0x3f737871, v31
	v_sub_f32_e32 v11, v11, v7
	v_sub_f32_e32 v7, v10, v28
	;; [unrolled: 1-line block ×3, first 2 shown]
	v_fmac_f32_e32 v3, 0xbf737871, v31
	v_fmac_f32_e32 v5, 0x3f167918, v11
	v_add_f32_e32 v7, v7, v32
	v_fmac_f32_e32 v3, 0xbf167918, v11
	v_fmac_f32_e32 v5, 0x3e9e377a, v7
	;; [unrolled: 1-line block ×3, first 2 shown]
	v_add_f32_e32 v7, v10, v30
	v_fma_f32 v7, -0.5, v7, v9
	v_add_f32_e32 v1, v9, v10
	v_mov_b32_e32 v9, v7
	v_add_f32_e32 v1, v1, v28
	v_fmac_f32_e32 v9, 0xbf737871, v11
	v_sub_f32_e32 v10, v28, v10
	v_sub_f32_e32 v28, v29, v30
	v_fmac_f32_e32 v7, 0x3f737871, v11
	v_add_f32_e32 v1, v1, v29
	v_fmac_f32_e32 v9, 0x3f167918, v31
	v_add_f32_e32 v10, v10, v28
	;; [unrolled: 2-line block ×3, first 2 shown]
	v_fmac_f32_e32 v9, 0x3e9e377a, v10
	v_fmac_f32_e32 v7, 0x3e9e377a, v10
	ds_write2_b64 v42, v[0:1], v[4:5] offset1:7
	ds_write2_b64 v42, v[8:9], v[6:7] offset0:14 offset1:21
	ds_write_b64 v42, v[2:3] offset:224
	s_waitcnt lgkmcnt(0)
	s_barrier
	ds_read2_b64 v[0:3], v39 offset1:175
	ds_read2_b64 v[4:7], v34 offset0:30 offset1:205
	ds_read_b64 v[8:9], v39 offset:5600
	s_waitcnt lgkmcnt(0)
	s_barrier
	v_mul_f32_e32 v10, v17, v3
	v_fmac_f32_e32 v10, v16, v2
	v_mul_f32_e32 v2, v17, v2
	v_fma_f32 v11, v16, v3, -v2
	v_mul_f32_e32 v16, v19, v5
	v_mul_f32_e32 v2, v19, v4
	v_fmac_f32_e32 v16, v18, v4
	v_fma_f32 v17, v18, v5, -v2
	v_mul_f32_e32 v18, v13, v7
	v_fmac_f32_e32 v18, v12, v6
	v_mul_f32_e32 v2, v13, v6
	v_fma_f32 v12, v12, v7, -v2
	v_mul_f32_e32 v2, v15, v8
	v_add_f32_e32 v3, v16, v18
	v_mul_f32_e32 v7, v15, v9
	v_fma_f32 v13, v14, v9, -v2
	v_fma_f32 v4, -0.5, v3, v0
	v_fmac_f32_e32 v7, v14, v8
	v_sub_f32_e32 v3, v11, v13
	v_mov_b32_e32 v6, v4
	v_fmac_f32_e32 v6, 0xbf737871, v3
	v_sub_f32_e32 v5, v17, v12
	v_sub_f32_e32 v8, v10, v16
	;; [unrolled: 1-line block ×3, first 2 shown]
	v_fmac_f32_e32 v4, 0x3f737871, v3
	v_fmac_f32_e32 v6, 0xbf167918, v5
	v_add_f32_e32 v8, v8, v9
	v_fmac_f32_e32 v4, 0x3f167918, v5
	v_fmac_f32_e32 v6, 0x3e9e377a, v8
	;; [unrolled: 1-line block ×3, first 2 shown]
	v_add_f32_e32 v8, v10, v7
	v_add_f32_e32 v2, v0, v10
	v_fma_f32 v0, -0.5, v8, v0
	v_mov_b32_e32 v8, v0
	v_add_f32_e32 v2, v2, v16
	v_fmac_f32_e32 v8, 0x3f737871, v5
	v_fmac_f32_e32 v0, 0xbf737871, v5
	v_add_f32_e32 v5, v17, v12
	v_add_f32_e32 v2, v2, v18
	v_sub_f32_e32 v9, v16, v10
	v_sub_f32_e32 v14, v18, v7
	v_fma_f32 v5, -0.5, v5, v1
	v_add_f32_e32 v2, v2, v7
	v_fmac_f32_e32 v8, 0xbf167918, v3
	v_add_f32_e32 v9, v9, v14
	v_fmac_f32_e32 v0, 0x3f167918, v3
	v_sub_f32_e32 v10, v10, v7
	v_mov_b32_e32 v7, v5
	v_fmac_f32_e32 v8, 0x3e9e377a, v9
	v_fmac_f32_e32 v0, 0x3e9e377a, v9
	;; [unrolled: 1-line block ×3, first 2 shown]
	v_sub_f32_e32 v14, v16, v18
	v_sub_f32_e32 v9, v11, v17
	;; [unrolled: 1-line block ×3, first 2 shown]
	v_fmac_f32_e32 v5, 0xbf737871, v10
	v_fmac_f32_e32 v7, 0x3f167918, v14
	v_add_f32_e32 v9, v9, v15
	v_fmac_f32_e32 v5, 0xbf167918, v14
	v_fmac_f32_e32 v7, 0x3e9e377a, v9
	;; [unrolled: 1-line block ×3, first 2 shown]
	v_add_f32_e32 v9, v11, v13
	v_add_f32_e32 v3, v1, v11
	v_fma_f32 v1, -0.5, v9, v1
	v_add_f32_e32 v3, v3, v17
	v_mov_b32_e32 v9, v1
	v_add_f32_e32 v3, v3, v12
	v_fmac_f32_e32 v9, 0xbf737871, v14
	v_sub_f32_e32 v11, v17, v11
	v_sub_f32_e32 v12, v12, v13
	v_fmac_f32_e32 v1, 0x3f737871, v14
	v_fmac_f32_e32 v9, 0x3f167918, v10
	v_add_f32_e32 v11, v11, v12
	v_fmac_f32_e32 v1, 0xbf167918, v10
	v_add_f32_e32 v3, v3, v13
	v_fmac_f32_e32 v9, 0x3e9e377a, v11
	v_fmac_f32_e32 v1, 0x3e9e377a, v11
	ds_write2_b64 v43, v[2:3], v[6:7] offset1:35
	ds_write2_b64 v43, v[8:9], v[0:1] offset0:70 offset1:105
	ds_write_b64 v43, v[4:5] offset:1120
	s_waitcnt lgkmcnt(0)
	s_barrier
	ds_read2_b64 v[0:3], v39 offset1:175
	ds_read2_b64 v[4:7], v34 offset0:30 offset1:205
	ds_read_b64 v[8:9], v39 offset:5600
	s_waitcnt lgkmcnt(2)
	v_mul_f32_e32 v10, v21, v3
	v_fmac_f32_e32 v10, v20, v2
	v_mul_f32_e32 v2, v21, v2
	v_fma_f32 v11, v20, v3, -v2
	s_waitcnt lgkmcnt(1)
	v_mul_f32_e32 v12, v23, v5
	v_mul_f32_e32 v2, v23, v4
	;; [unrolled: 1-line block ×3, first 2 shown]
	v_fmac_f32_e32 v12, v22, v4
	v_fma_f32 v13, v22, v5, -v2
	v_fmac_f32_e32 v14, v24, v6
	v_mul_f32_e32 v2, v25, v6
	v_fma_f32 v15, v24, v7, -v2
	s_waitcnt lgkmcnt(0)
	v_mul_f32_e32 v2, v27, v8
	v_add_f32_e32 v3, v12, v14
	v_mul_f32_e32 v7, v27, v9
	v_fma_f32 v16, v26, v9, -v2
	v_fma_f32 v4, -0.5, v3, v0
	v_fmac_f32_e32 v7, v26, v8
	v_sub_f32_e32 v3, v11, v16
	v_mov_b32_e32 v6, v4
	v_fmac_f32_e32 v6, 0xbf737871, v3
	v_sub_f32_e32 v5, v13, v15
	v_sub_f32_e32 v8, v10, v12
	;; [unrolled: 1-line block ×3, first 2 shown]
	v_fmac_f32_e32 v4, 0x3f737871, v3
	v_fmac_f32_e32 v6, 0xbf167918, v5
	v_add_f32_e32 v8, v8, v9
	v_fmac_f32_e32 v4, 0x3f167918, v5
	v_fmac_f32_e32 v6, 0x3e9e377a, v8
	;; [unrolled: 1-line block ×3, first 2 shown]
	v_add_f32_e32 v8, v10, v7
	v_add_f32_e32 v2, v0, v10
	v_fma_f32 v0, -0.5, v8, v0
	v_mov_b32_e32 v8, v0
	v_add_f32_e32 v2, v2, v12
	v_fmac_f32_e32 v8, 0x3f737871, v5
	v_fmac_f32_e32 v0, 0xbf737871, v5
	v_add_f32_e32 v5, v13, v15
	v_add_f32_e32 v2, v2, v14
	v_sub_f32_e32 v9, v12, v10
	v_sub_f32_e32 v17, v14, v7
	v_fma_f32 v5, -0.5, v5, v1
	v_add_f32_e32 v2, v2, v7
	v_fmac_f32_e32 v8, 0xbf167918, v3
	v_add_f32_e32 v9, v9, v17
	v_fmac_f32_e32 v0, 0x3f167918, v3
	v_sub_f32_e32 v10, v10, v7
	v_mov_b32_e32 v7, v5
	v_fmac_f32_e32 v8, 0x3e9e377a, v9
	v_fmac_f32_e32 v0, 0x3e9e377a, v9
	v_fmac_f32_e32 v7, 0x3f737871, v10
	v_sub_f32_e32 v12, v12, v14
	v_sub_f32_e32 v9, v11, v13
	v_sub_f32_e32 v14, v16, v15
	v_fmac_f32_e32 v5, 0xbf737871, v10
	v_fmac_f32_e32 v7, 0x3f167918, v12
	v_add_f32_e32 v9, v9, v14
	v_fmac_f32_e32 v5, 0xbf167918, v12
	v_fmac_f32_e32 v7, 0x3e9e377a, v9
	;; [unrolled: 1-line block ×3, first 2 shown]
	v_add_f32_e32 v9, v11, v16
	v_add_f32_e32 v3, v1, v11
	v_fma_f32 v1, -0.5, v9, v1
	v_add_f32_e32 v3, v3, v13
	v_mov_b32_e32 v9, v1
	v_add_f32_e32 v3, v3, v15
	v_fmac_f32_e32 v9, 0xbf737871, v12
	v_sub_f32_e32 v11, v13, v11
	v_sub_f32_e32 v13, v15, v16
	v_fmac_f32_e32 v1, 0x3f737871, v12
	v_add_f32_e32 v3, v3, v16
	v_fmac_f32_e32 v9, 0x3f167918, v10
	v_add_f32_e32 v11, v11, v13
	v_fmac_f32_e32 v1, 0xbf167918, v10
	v_fmac_f32_e32 v9, 0x3e9e377a, v11
	;; [unrolled: 1-line block ×3, first 2 shown]
	ds_write2_b64 v39, v[2:3], v[6:7] offset1:175
	ds_write2_b64 v34, v[8:9], v[0:1] offset0:30 offset1:205
	ds_write_b64 v39, v[4:5] offset:5600
	s_waitcnt lgkmcnt(0)
	s_barrier
	s_and_b64 exec, exec, s[0:1]
	s_cbranch_execz .LBB0_15
; %bb.14:
	global_load_dwordx2 v[8:9], v39, s[14:15]
	global_load_dwordx2 v[10:11], v39, s[14:15] offset:1000
	global_load_dwordx2 v[12:13], v39, s[14:15] offset:2000
	;; [unrolled: 1-line block ×3, first 2 shown]
	ds_read_b64 v[16:17], v39
	global_load_dwordx2 v[22:23], v39, s[14:15] offset:4000
	v_mad_u64_u32 v[18:19], s[0:1], s6, v36, 0
	v_mad_u64_u32 v[20:21], s[2:3], s4, v40, 0
	v_mov_b32_e32 v4, s15
	v_add_co_u32_e32 v24, vcc, s14, v39
	s_mul_i32 s2, s5, 0x3e8
	s_mul_hi_u32 s3, s4, 0x3e8
	s_movk_i32 s6, 0x1000
	v_addc_co_u32_e32 v25, vcc, 0, v4, vcc
	s_add_i32 s8, s3, s2
	v_add_co_u32_e32 v24, vcc, s6, v24
	v_mad_u64_u32 v[26:27], s[2:3], s7, v36, v[19:20]
	v_add_u32_e32 v5, 0x800, v39
	v_addc_co_u32_e32 v25, vcc, 0, v25, vcc
	ds_read2_b64 v[0:3], v39 offset0:125 offset1:250
	ds_read2_b64 v[4:7], v5 offset0:119 offset1:244
	v_mov_b32_e32 v19, v26
	v_lshlrev_b64 v[18:19], 3, v[18:19]
	v_mov_b32_e32 v32, s13
	v_add_co_u32_e32 v18, vcc, s12, v18
	v_addc_co_u32_e32 v19, vcc, v32, v19, vcc
	s_mulk_i32 s4, 0x3e8
	v_mov_b32_e32 v33, s8
	v_mov_b32_e32 v34, s8
	s_mov_b32 s0, 0x835d548e
	s_mov_b32 s1, 0x3f52b97d
	s_waitcnt vmcnt(4) lgkmcnt(2)
	v_mul_f32_e32 v26, v17, v9
	v_mul_f32_e32 v9, v16, v9
	s_waitcnt vmcnt(2) lgkmcnt(1)
	v_mul_f32_e32 v32, v3, v13
	v_mul_f32_e32 v13, v2, v13
	v_fmac_f32_e32 v26, v16, v8
	s_waitcnt vmcnt(0)
	v_mad_u64_u32 v[27:28], s[2:3], s5, v40, v[21:22]
	global_load_dwordx2 v[28:29], v[24:25], off offset:904
	global_load_dwordx2 v[30:31], v[24:25], off offset:1904
	v_fma_f32 v8, v8, v17, -v9
	v_mov_b32_e32 v21, v27
	v_lshlrev_b64 v[20:21], 3, v[20:21]
	v_mul_f32_e32 v27, v1, v11
	v_add_co_u32_e32 v18, vcc, v18, v20
	v_addc_co_u32_e32 v19, vcc, v19, v21, vcc
	v_add_co_u32_e32 v20, vcc, s4, v18
	v_addc_co_u32_e32 v21, vcc, v19, v33, vcc
	v_mul_f32_e32 v11, v0, v11
	v_add_co_u32_e32 v24, vcc, s4, v20
	v_fmac_f32_e32 v27, v0, v10
	v_fma_f32 v10, v10, v1, -v11
	v_addc_co_u32_e32 v25, vcc, v21, v34, vcc
	s_waitcnt lgkmcnt(0)
	v_mul_f32_e32 v33, v5, v15
	v_mul_f32_e32 v34, v4, v15
	v_fmac_f32_e32 v32, v2, v12
	v_fma_f32 v15, v12, v3, -v13
	v_cvt_f64_f32_e32 v[0:1], v26
	v_cvt_f64_f32_e32 v[2:3], v8
	;; [unrolled: 1-line block ×6, first 2 shown]
	v_fmac_f32_e32 v33, v4, v14
	v_mul_f64 v[0:1], v[0:1], s[0:1]
	v_mul_f64 v[2:3], v[2:3], s[0:1]
	;; [unrolled: 1-line block ×3, first 2 shown]
	v_cvt_f64_f32_e32 v[26:27], v33
	v_mul_f64 v[8:9], v[8:9], s[0:1]
	v_mul_f64 v[12:13], v[12:13], s[0:1]
	;; [unrolled: 1-line block ×3, first 2 shown]
	v_fma_f32 v14, v14, v5, -v34
	v_mul_f64 v[4:5], v[26:27], s[0:1]
	v_cvt_f32_f64_e32 v0, v[0:1]
	v_cvt_f32_f64_e32 v1, v[2:3]
	v_cvt_f32_f64_e32 v3, v[10:11]
	v_cvt_f64_f32_e32 v[10:11], v14
	v_cvt_f32_f64_e32 v2, v[8:9]
	v_cvt_f32_f64_e32 v8, v[12:13]
	;; [unrolled: 1-line block ×3, first 2 shown]
	global_store_dwordx2 v[18:19], v[0:1], off
	global_store_dwordx2 v[20:21], v[2:3], off
	;; [unrolled: 1-line block ×3, first 2 shown]
	v_mul_f64 v[0:1], v[10:11], s[0:1]
	v_cvt_f32_f64_e32 v4, v[4:5]
	v_mul_f32_e32 v5, v6, v23
	v_mul_f32_e32 v2, v7, v23
	v_fma_f32 v5, v22, v7, -v5
	v_fmac_f32_e32 v2, v6, v22
	v_cvt_f64_f32_e32 v[6:7], v5
	v_cvt_f64_f32_e32 v[2:3], v2
	v_cvt_f32_f64_e32 v5, v[0:1]
	v_mov_b32_e32 v0, s8
	v_mul_f64 v[6:7], v[6:7], s[0:1]
	v_add_co_u32_e32 v10, vcc, s4, v24
	v_addc_co_u32_e32 v11, vcc, v25, v0, vcc
	v_add_u32_e32 v0, 0x1000, v39
	v_mul_f64 v[8:9], v[2:3], s[0:1]
	ds_read2_b64 v[0:3], v0 offset0:113 offset1:238
	global_store_dwordx2 v[10:11], v[4:5], off
	v_cvt_f32_f64_e32 v5, v[6:7]
	v_cvt_f32_f64_e32 v4, v[8:9]
	v_mov_b32_e32 v9, s8
	v_add_co_u32_e32 v8, vcc, s4, v10
	v_addc_co_u32_e32 v9, vcc, v11, v9, vcc
	s_waitcnt vmcnt(5) lgkmcnt(0)
	v_mul_f32_e32 v6, v1, v29
	v_fmac_f32_e32 v6, v0, v28
	v_mul_f32_e32 v0, v0, v29
	v_fma_f32 v0, v28, v1, -v0
	v_cvt_f64_f32_e32 v[6:7], v6
	v_cvt_f64_f32_e32 v[0:1], v0
	global_store_dwordx2 v[8:9], v[4:5], off
	v_mul_f64 v[4:5], v[6:7], s[0:1]
	v_mul_f64 v[0:1], v[0:1], s[0:1]
	s_waitcnt vmcnt(5)
	v_mul_f32_e32 v6, v3, v31
	v_fmac_f32_e32 v6, v2, v30
	v_mul_f32_e32 v2, v2, v31
	v_fma_f32 v2, v30, v3, -v2
	v_cvt_f64_f32_e32 v[6:7], v6
	v_cvt_f64_f32_e32 v[2:3], v2
	v_cvt_f32_f64_e32 v4, v[4:5]
	v_cvt_f32_f64_e32 v5, v[0:1]
	v_mul_f64 v[0:1], v[6:7], s[0:1]
	v_mul_f64 v[2:3], v[2:3], s[0:1]
	v_mov_b32_e32 v7, s8
	v_add_co_u32_e32 v6, vcc, s4, v8
	v_addc_co_u32_e32 v7, vcc, v9, v7, vcc
	global_store_dwordx2 v[6:7], v[4:5], off
	v_cvt_f32_f64_e32 v0, v[0:1]
	v_cvt_f32_f64_e32 v1, v[2:3]
	v_mov_b32_e32 v3, s8
	v_add_co_u32_e32 v2, vcc, s4, v6
	v_addc_co_u32_e32 v3, vcc, v7, v3, vcc
	global_store_dwordx2 v[2:3], v[0:1], off
.LBB0_15:
	s_endpgm
	.section	.rodata,"a",@progbits
	.p2align	6, 0x0
	.amdhsa_kernel bluestein_single_fwd_len875_dim1_sp_op_CI_CI
		.amdhsa_group_segment_fixed_size 7000
		.amdhsa_private_segment_fixed_size 0
		.amdhsa_kernarg_size 104
		.amdhsa_user_sgpr_count 6
		.amdhsa_user_sgpr_private_segment_buffer 1
		.amdhsa_user_sgpr_dispatch_ptr 0
		.amdhsa_user_sgpr_queue_ptr 0
		.amdhsa_user_sgpr_kernarg_segment_ptr 1
		.amdhsa_user_sgpr_dispatch_id 0
		.amdhsa_user_sgpr_flat_scratch_init 0
		.amdhsa_user_sgpr_private_segment_size 0
		.amdhsa_uses_dynamic_stack 0
		.amdhsa_system_sgpr_private_segment_wavefront_offset 0
		.amdhsa_system_sgpr_workgroup_id_x 1
		.amdhsa_system_sgpr_workgroup_id_y 0
		.amdhsa_system_sgpr_workgroup_id_z 0
		.amdhsa_system_sgpr_workgroup_info 0
		.amdhsa_system_vgpr_workitem_id 0
		.amdhsa_next_free_vgpr 61
		.amdhsa_next_free_sgpr 18
		.amdhsa_reserve_vcc 1
		.amdhsa_reserve_flat_scratch 0
		.amdhsa_float_round_mode_32 0
		.amdhsa_float_round_mode_16_64 0
		.amdhsa_float_denorm_mode_32 3
		.amdhsa_float_denorm_mode_16_64 3
		.amdhsa_dx10_clamp 1
		.amdhsa_ieee_mode 1
		.amdhsa_fp16_overflow 0
		.amdhsa_exception_fp_ieee_invalid_op 0
		.amdhsa_exception_fp_denorm_src 0
		.amdhsa_exception_fp_ieee_div_zero 0
		.amdhsa_exception_fp_ieee_overflow 0
		.amdhsa_exception_fp_ieee_underflow 0
		.amdhsa_exception_fp_ieee_inexact 0
		.amdhsa_exception_int_div_zero 0
	.end_amdhsa_kernel
	.text
.Lfunc_end0:
	.size	bluestein_single_fwd_len875_dim1_sp_op_CI_CI, .Lfunc_end0-bluestein_single_fwd_len875_dim1_sp_op_CI_CI
                                        ; -- End function
	.section	.AMDGPU.csdata,"",@progbits
; Kernel info:
; codeLenInByte = 6276
; NumSgprs: 22
; NumVgprs: 61
; ScratchSize: 0
; MemoryBound: 0
; FloatMode: 240
; IeeeMode: 1
; LDSByteSize: 7000 bytes/workgroup (compile time only)
; SGPRBlocks: 2
; VGPRBlocks: 15
; NumSGPRsForWavesPerEU: 22
; NumVGPRsForWavesPerEU: 61
; Occupancy: 4
; WaveLimiterHint : 1
; COMPUTE_PGM_RSRC2:SCRATCH_EN: 0
; COMPUTE_PGM_RSRC2:USER_SGPR: 6
; COMPUTE_PGM_RSRC2:TRAP_HANDLER: 0
; COMPUTE_PGM_RSRC2:TGID_X_EN: 1
; COMPUTE_PGM_RSRC2:TGID_Y_EN: 0
; COMPUTE_PGM_RSRC2:TGID_Z_EN: 0
; COMPUTE_PGM_RSRC2:TIDIG_COMP_CNT: 0
	.type	__hip_cuid_4774b88afba5359e,@object ; @__hip_cuid_4774b88afba5359e
	.section	.bss,"aw",@nobits
	.globl	__hip_cuid_4774b88afba5359e
__hip_cuid_4774b88afba5359e:
	.byte	0                               ; 0x0
	.size	__hip_cuid_4774b88afba5359e, 1

	.ident	"AMD clang version 19.0.0git (https://github.com/RadeonOpenCompute/llvm-project roc-6.4.0 25133 c7fe45cf4b819c5991fe208aaa96edf142730f1d)"
	.section	".note.GNU-stack","",@progbits
	.addrsig
	.addrsig_sym __hip_cuid_4774b88afba5359e
	.amdgpu_metadata
---
amdhsa.kernels:
  - .args:
      - .actual_access:  read_only
        .address_space:  global
        .offset:         0
        .size:           8
        .value_kind:     global_buffer
      - .actual_access:  read_only
        .address_space:  global
        .offset:         8
        .size:           8
        .value_kind:     global_buffer
      - .actual_access:  read_only
        .address_space:  global
        .offset:         16
        .size:           8
        .value_kind:     global_buffer
      - .actual_access:  read_only
        .address_space:  global
        .offset:         24
        .size:           8
        .value_kind:     global_buffer
      - .actual_access:  read_only
        .address_space:  global
        .offset:         32
        .size:           8
        .value_kind:     global_buffer
      - .offset:         40
        .size:           8
        .value_kind:     by_value
      - .address_space:  global
        .offset:         48
        .size:           8
        .value_kind:     global_buffer
      - .address_space:  global
        .offset:         56
        .size:           8
        .value_kind:     global_buffer
      - .address_space:  global
        .offset:         64
        .size:           8
        .value_kind:     global_buffer
      - .address_space:  global
        .offset:         72
        .size:           8
        .value_kind:     global_buffer
      - .offset:         80
        .size:           4
        .value_kind:     by_value
      - .address_space:  global
        .offset:         88
        .size:           8
        .value_kind:     global_buffer
      - .address_space:  global
        .offset:         96
        .size:           8
        .value_kind:     global_buffer
    .group_segment_fixed_size: 7000
    .kernarg_segment_align: 8
    .kernarg_segment_size: 104
    .language:       OpenCL C
    .language_version:
      - 2
      - 0
    .max_flat_workgroup_size: 175
    .name:           bluestein_single_fwd_len875_dim1_sp_op_CI_CI
    .private_segment_fixed_size: 0
    .sgpr_count:     22
    .sgpr_spill_count: 0
    .symbol:         bluestein_single_fwd_len875_dim1_sp_op_CI_CI.kd
    .uniform_work_group_size: 1
    .uses_dynamic_stack: false
    .vgpr_count:     61
    .vgpr_spill_count: 0
    .wavefront_size: 64
amdhsa.target:   amdgcn-amd-amdhsa--gfx906
amdhsa.version:
  - 1
  - 2
...

	.end_amdgpu_metadata
